;; amdgpu-corpus repo=ROCm/rocFFT kind=compiled arch=gfx1201 opt=O3
	.text
	.amdgcn_target "amdgcn-amd-amdhsa--gfx1201"
	.amdhsa_code_object_version 6
	.protected	bluestein_single_fwd_len1125_dim1_dp_op_CI_CI ; -- Begin function bluestein_single_fwd_len1125_dim1_dp_op_CI_CI
	.globl	bluestein_single_fwd_len1125_dim1_dp_op_CI_CI
	.p2align	8
	.type	bluestein_single_fwd_len1125_dim1_dp_op_CI_CI,@function
bluestein_single_fwd_len1125_dim1_dp_op_CI_CI: ; @bluestein_single_fwd_len1125_dim1_dp_op_CI_CI
; %bb.0:
	s_load_b128 s[12:15], s[0:1], 0x28
	v_mul_u32_u24_e32 v1, 0x124, v0
	s_mov_b32 s2, exec_lo
	v_mov_b32_e32 v93, 0
	s_delay_alu instid0(VALU_DEP_2) | instskip(NEXT) | instid1(VALU_DEP_1)
	v_lshrrev_b32_e32 v1, 16, v1
	v_add_nc_u32_e32 v92, ttmp9, v1
	s_wait_kmcnt 0x0
	s_delay_alu instid0(VALU_DEP_1)
	v_cmpx_gt_u64_e64 s[12:13], v[92:93]
	s_cbranch_execz .LBB0_18
; %bb.1:
	s_clause 0x1
	s_load_b128 s[4:7], s[0:1], 0x18
	s_load_b128 s[8:11], s[0:1], 0x0
	v_mul_lo_u16 v1, 0xe1, v1
	s_mov_b32 s13, 0xbfee6f0e
	s_load_b64 s[0:1], s[0:1], 0x38
	s_delay_alu instid0(VALU_DEP_1) | instskip(NEXT) | instid1(VALU_DEP_1)
	v_sub_nc_u16 v36, v0, v1
	v_and_b32_e32 v95, 0xffff, v36
	s_delay_alu instid0(VALU_DEP_1)
	v_lshlrev_b32_e32 v96, 4, v95
	s_wait_kmcnt 0x0
	s_load_b128 s[16:19], s[4:5], 0x0
	s_wait_kmcnt 0x0
	v_mad_co_u64_u32 v[0:1], null, s18, v92, 0
	v_mad_co_u64_u32 v[2:3], null, s16, v95, 0
	s_mul_u64 s[2:3], s[16:17], 0xe10
	s_delay_alu instid0(VALU_DEP_1) | instskip(SKIP_2) | instid1(VALU_DEP_1)
	v_mad_co_u64_u32 v[4:5], null, s19, v92, v[1:2]
	s_mov_b32 s18, 0x372fe950
	s_mov_b32 s19, 0x3fd3c6ef
	v_mad_co_u64_u32 v[5:6], null, s17, v95, v[3:4]
	v_mov_b32_e32 v1, v4
	s_mov_b32 s17, 0xbfe2cf23
	s_delay_alu instid0(VALU_DEP_1) | instskip(NEXT) | instid1(VALU_DEP_3)
	v_lshlrev_b64_e32 v[0:1], 4, v[0:1]
	v_mov_b32_e32 v3, v5
	s_delay_alu instid0(VALU_DEP_2) | instskip(NEXT) | instid1(VALU_DEP_2)
	v_add_co_u32 v0, vcc_lo, s14, v0
	v_lshlrev_b64_e32 v[2:3], 4, v[2:3]
	s_delay_alu instid0(VALU_DEP_4)
	v_add_co_ci_u32_e32 v1, vcc_lo, s15, v1, vcc_lo
	s_mov_b32 s14, 0x4755a5e
	s_mov_b32 s15, 0x3fe2cf23
	s_wait_alu 0xfffe
	s_mov_b32 s16, s14
	v_add_co_u32 v8, vcc_lo, v0, v2
	s_wait_alu 0xfffd
	v_add_co_ci_u32_e32 v9, vcc_lo, v1, v3, vcc_lo
	s_clause 0x1
	global_load_b128 v[0:3], v96, s[8:9]
	global_load_b128 v[4:7], v96, s[8:9] offset:3600
	v_add_co_u32 v10, vcc_lo, v8, s2
	s_wait_alu 0xfffd
	v_add_co_ci_u32_e32 v11, vcc_lo, s3, v9, vcc_lo
	s_clause 0x1
	global_load_b128 v[20:23], v[8:9], off
	global_load_b128 v[24:27], v[10:11], off
	v_add_co_u32 v12, vcc_lo, v10, s2
	s_wait_alu 0xfffd
	v_add_co_ci_u32_e32 v13, vcc_lo, s3, v11, vcc_lo
	s_delay_alu instid0(VALU_DEP_2) | instskip(SKIP_1) | instid1(VALU_DEP_2)
	v_add_co_u32 v16, vcc_lo, v12, s2
	s_wait_alu 0xfffd
	v_add_co_ci_u32_e32 v17, vcc_lo, s3, v13, vcc_lo
	global_load_b128 v[28:31], v[12:13], off
	v_add_co_u32 v37, vcc_lo, v16, s2
	s_wait_alu 0xfffd
	v_add_co_ci_u32_e32 v38, vcc_lo, s3, v17, vcc_lo
	s_clause 0x1
	global_load_b128 v[12:15], v96, s[8:9] offset:7200
	global_load_b128 v[8:11], v96, s[8:9] offset:10800
	global_load_b128 v[32:35], v[16:17], off
	global_load_b128 v[16:19], v96, s[8:9] offset:14400
	global_load_b128 v[37:40], v[37:38], off
	s_load_b128 s[4:7], s[6:7], 0x0
	s_mov_b32 s2, 0x134454ff
	s_mov_b32 s3, 0x3fee6f0e
	s_wait_alu 0xfffe
	s_mov_b32 s12, s2
	v_cmp_gt_u16_e32 vcc_lo, 0x96, v36
	s_wait_loadcnt 0x7
	v_mul_f64_e32 v[41:42], v[22:23], v[2:3]
	v_mul_f64_e32 v[43:44], v[20:21], v[2:3]
	s_wait_loadcnt 0x6
	v_mul_f64_e32 v[45:46], v[26:27], v[6:7]
	v_mul_f64_e32 v[47:48], v[24:25], v[6:7]
	;; [unrolled: 3-line block ×5, first 2 shown]
	v_fma_f64 v[20:21], v[20:21], v[0:1], v[41:42]
	v_fma_f64 v[22:23], v[22:23], v[0:1], -v[43:44]
	v_fma_f64 v[24:25], v[24:25], v[4:5], v[45:46]
	v_fma_f64 v[26:27], v[26:27], v[4:5], -v[47:48]
	;; [unrolled: 2-line block ×5, first 2 shown]
	ds_store_b128 v96, v[20:23]
	ds_store_b128 v96, v[24:27] offset:3600
	ds_store_b128 v96, v[28:31] offset:7200
	;; [unrolled: 1-line block ×4, first 2 shown]
	global_wb scope:SCOPE_SE
	s_wait_dscnt 0x0
	s_wait_kmcnt 0x0
	s_barrier_signal -1
	s_barrier_wait -1
	global_inv scope:SCOPE_SE
	ds_load_b128 v[20:23], v96 offset:7200
	ds_load_b128 v[24:27], v96 offset:10800
	;; [unrolled: 1-line block ×4, first 2 shown]
	ds_load_b128 v[37:40], v96
	global_wb scope:SCOPE_SE
	s_wait_dscnt 0x0
	s_barrier_signal -1
	s_barrier_wait -1
	global_inv scope:SCOPE_SE
	v_add_f64_e32 v[41:42], v[20:21], v[24:25]
	v_add_f64_e32 v[45:46], v[22:23], v[26:27]
	;; [unrolled: 1-line block ×6, first 2 shown]
	v_add_f64_e64 v[51:52], v[34:35], -v[30:31]
	v_add_f64_e64 v[57:58], v[32:33], -v[28:29]
	;; [unrolled: 1-line block ×9, first 2 shown]
	v_fma_f64 v[41:42], v[41:42], -0.5, v[37:38]
	v_fma_f64 v[45:46], v[45:46], -0.5, v[39:40]
	;; [unrolled: 1-line block ×3, first 2 shown]
	v_add_f64_e64 v[43:44], v[20:21], -v[24:25]
	v_fma_f64 v[39:40], v[47:48], -0.5, v[39:40]
	v_add_f64_e64 v[47:48], v[32:33], -v[20:21]
	v_add_f64_e64 v[32:33], v[20:21], -v[32:33]
	v_add_f64_e32 v[20:21], v[49:50], v[20:21]
	v_add_f64_e32 v[22:23], v[55:56], v[22:23]
	v_fma_f64 v[49:50], v[51:52], s[2:3], v[41:42]
	s_wait_alu 0xfffe
	v_fma_f64 v[41:42], v[51:52], s[12:13], v[41:42]
	v_fma_f64 v[69:70], v[57:58], s[12:13], v[45:46]
	v_fma_f64 v[55:56], v[53:54], s[12:13], v[37:38]
	v_fma_f64 v[37:38], v[53:54], s[2:3], v[37:38]
	v_fma_f64 v[71:72], v[43:44], s[2:3], v[39:40]
	v_fma_f64 v[39:40], v[43:44], s[12:13], v[39:40]
	v_fma_f64 v[45:46], v[57:58], s[2:3], v[45:46]
	v_add_f64_e32 v[20:21], v[20:21], v[24:25]
	v_add_f64_e32 v[22:23], v[22:23], v[26:27]
	;; [unrolled: 1-line block ×6, first 2 shown]
	v_fma_f64 v[24:25], v[53:54], s[14:15], v[49:50]
	v_fma_f64 v[26:27], v[53:54], s[16:17], v[41:42]
	;; [unrolled: 1-line block ×8, first 2 shown]
	v_add_f64_e32 v[20:21], v[20:21], v[28:29]
	v_add_f64_e32 v[22:23], v[22:23], v[30:31]
	v_and_b32_e32 v45, 0xff, v36
	v_fma_f64 v[24:25], v[47:48], s[18:19], v[24:25]
	v_fma_f64 v[28:29], v[47:48], s[18:19], v[26:27]
	;; [unrolled: 1-line block ×8, first 2 shown]
	v_mul_lo_u16 v41, 0xcd, v45
	v_mul_lo_u16 v42, v36, 5
	s_delay_alu instid0(VALU_DEP_2) | instskip(NEXT) | instid1(VALU_DEP_2)
	v_lshrrev_b16 v89, 10, v41
	v_and_b32_e32 v42, 0xffff, v42
	s_delay_alu instid0(VALU_DEP_2) | instskip(NEXT) | instid1(VALU_DEP_2)
	v_mul_lo_u16 v41, v89, 5
	v_lshlrev_b32_e32 v99, 4, v42
	ds_store_b128 v99, v[20:23]
	ds_store_b128 v99, v[24:27] offset:16
	ds_store_b128 v99, v[32:35] offset:32
	;; [unrolled: 1-line block ×4, first 2 shown]
	v_sub_nc_u16 v41, v36, v41
	global_wb scope:SCOPE_SE
	s_wait_dscnt 0x0
	s_barrier_signal -1
	s_barrier_wait -1
	global_inv scope:SCOPE_SE
	v_and_b32_e32 v90, 0xff, v41
	s_delay_alu instid0(VALU_DEP_1)
	v_lshlrev_b32_e32 v41, 6, v90
	s_clause 0x3
	global_load_b128 v[32:35], v41, s[10:11]
	global_load_b128 v[28:31], v41, s[10:11] offset:16
	global_load_b128 v[24:27], v41, s[10:11] offset:32
	;; [unrolled: 1-line block ×3, first 2 shown]
	ds_load_b128 v[37:40], v96 offset:3600
	ds_load_b128 v[41:44], v96 offset:7200
	;; [unrolled: 1-line block ×4, first 2 shown]
	ds_load_b128 v[53:56], v96
	global_wb scope:SCOPE_SE
	s_wait_loadcnt_dscnt 0x0
	s_barrier_signal -1
	s_barrier_wait -1
	global_inv scope:SCOPE_SE
	v_mul_f64_e32 v[57:58], v[39:40], v[34:35]
	v_mul_f64_e32 v[59:60], v[43:44], v[30:31]
	;; [unrolled: 1-line block ×8, first 2 shown]
	v_fma_f64 v[37:38], v[37:38], v[32:33], -v[57:58]
	v_fma_f64 v[41:42], v[41:42], v[28:29], -v[59:60]
	;; [unrolled: 1-line block ×3, first 2 shown]
	v_fma_f64 v[43:44], v[43:44], v[28:29], v[67:68]
	v_fma_f64 v[47:48], v[47:48], v[24:25], v[69:70]
	;; [unrolled: 1-line block ×3, first 2 shown]
	v_fma_f64 v[49:50], v[49:50], v[20:21], -v[65:66]
	v_fma_f64 v[51:52], v[51:52], v[20:21], v[71:72]
	v_add_f64_e32 v[65:66], v[53:54], v[37:38]
	v_add_f64_e32 v[57:58], v[41:42], v[45:46]
	;; [unrolled: 1-line block ×6, first 2 shown]
	v_add_f64_e64 v[67:68], v[39:40], -v[51:52]
	v_add_f64_e64 v[73:74], v[37:38], -v[49:50]
	;; [unrolled: 1-line block ×9, first 2 shown]
	v_fma_f64 v[57:58], v[57:58], -0.5, v[53:54]
	v_fma_f64 v[61:62], v[61:62], -0.5, v[55:56]
	v_add_f64_e32 v[43:44], v[71:72], v[43:44]
	v_fma_f64 v[53:54], v[59:60], -0.5, v[53:54]
	v_add_f64_e64 v[59:60], v[41:42], -v[45:46]
	v_fma_f64 v[55:56], v[63:64], -0.5, v[55:56]
	v_add_f64_e64 v[63:64], v[37:38], -v[41:42]
	v_add_f64_e64 v[37:38], v[41:42], -v[37:38]
	v_add_f64_e32 v[41:42], v[65:66], v[41:42]
	v_fma_f64 v[65:66], v[67:68], s[2:3], v[57:58]
	v_fma_f64 v[57:58], v[67:68], s[12:13], v[57:58]
	;; [unrolled: 1-line block ×8, first 2 shown]
	v_add_f64_e32 v[63:64], v[63:64], v[75:76]
	v_add_f64_e32 v[75:76], v[37:38], v[77:78]
	;; [unrolled: 1-line block ×6, first 2 shown]
	v_fma_f64 v[41:42], v[69:70], s[14:15], v[65:66]
	v_fma_f64 v[43:44], v[69:70], s[16:17], v[57:58]
	;; [unrolled: 1-line block ×8, first 2 shown]
                                        ; implicit-def: $vgpr72_vgpr73
	v_add_f64_e32 v[37:38], v[37:38], v[49:50]
	v_add_f64_e32 v[39:40], v[39:40], v[51:52]
	v_and_b32_e32 v49, 0xffff, v89
	s_delay_alu instid0(VALU_DEP_1) | instskip(NEXT) | instid1(VALU_DEP_1)
	v_mul_u32_u24_e32 v49, 25, v49
	v_add_lshl_u32 v100, v49, v90, 4
	v_fma_f64 v[41:42], v[63:64], s[18:19], v[41:42]
	v_fma_f64 v[60:61], v[63:64], s[18:19], v[43:44]
	;; [unrolled: 1-line block ×8, first 2 shown]
	ds_store_b128 v100, v[37:40]
	ds_store_b128 v100, v[41:44] offset:80
	ds_store_b128 v100, v[45:48] offset:160
	;; [unrolled: 1-line block ×4, first 2 shown]
	global_wb scope:SCOPE_SE
	s_wait_dscnt 0x0
	s_barrier_signal -1
	s_barrier_wait -1
	global_inv scope:SCOPE_SE
	ds_load_b128 v[56:59], v96
	ds_load_b128 v[64:67], v96 offset:6000
	ds_load_b128 v[68:71], v96 offset:12000
	s_and_saveexec_b32 s2, vcc_lo
	s_cbranch_execz .LBB0_3
; %bb.2:
	ds_load_b128 v[52:55], v96 offset:3600
	ds_load_b128 v[60:63], v96 offset:9600
	;; [unrolled: 1-line block ×3, first 2 shown]
.LBB0_3:
	s_wait_alu 0xfffe
	s_or_b32 exec_lo, exec_lo, s2
	v_add_nc_u16 v102, v95, 0xe1
	v_and_b32_e32 v103, 0xff, v95
	s_mov_b32 s13, 0xbfebb67a
	s_delay_alu instid0(VALU_DEP_2) | instskip(NEXT) | instid1(VALU_DEP_1)
	v_and_b32_e32 v104, 0xffff, v102
	v_mul_u32_u24_e32 v36, 0x47af, v104
	s_delay_alu instid0(VALU_DEP_1) | instskip(NEXT) | instid1(VALU_DEP_1)
	v_lshrrev_b32_e32 v36, 16, v36
	v_sub_nc_u16 v37, v102, v36
	s_delay_alu instid0(VALU_DEP_1) | instskip(NEXT) | instid1(VALU_DEP_1)
	v_lshrrev_b16 v37, 1, v37
	v_add_nc_u16 v36, v37, v36
	v_mul_lo_u16 v37, v103, 41
	s_delay_alu instid0(VALU_DEP_2) | instskip(NEXT) | instid1(VALU_DEP_2)
	v_lshrrev_b16 v97, 4, v36
	v_lshrrev_b16 v101, 10, v37
	s_delay_alu instid0(VALU_DEP_2) | instskip(NEXT) | instid1(VALU_DEP_2)
	v_mul_lo_u16 v36, v97, 25
	v_mul_lo_u16 v37, v101, 25
	s_delay_alu instid0(VALU_DEP_2) | instskip(NEXT) | instid1(VALU_DEP_2)
	v_sub_nc_u16 v98, v102, v36
	v_sub_nc_u16 v36, v95, v37
	s_delay_alu instid0(VALU_DEP_2) | instskip(NEXT) | instid1(VALU_DEP_2)
	v_lshlrev_b16 v37, 5, v98
	v_and_b32_e32 v107, 0xff, v36
	s_delay_alu instid0(VALU_DEP_2) | instskip(NEXT) | instid1(VALU_DEP_2)
	v_and_b32_e32 v36, 0xffff, v37
	v_lshlrev_b32_e32 v37, 5, v107
	s_delay_alu instid0(VALU_DEP_2)
	v_add_co_u32 v44, s2, s10, v36
	s_wait_alu 0xf1ff
	v_add_co_ci_u32_e64 v45, null, s11, 0, s2
	s_mov_b32 s2, 0xe8584caa
	s_clause 0x3
	global_load_b128 v[40:43], v37, s[10:11] offset:320
	global_load_b128 v[36:39], v37, s[10:11] offset:336
	global_load_b128 v[48:51], v[44:45], off offset:320
	global_load_b128 v[44:47], v[44:45], off offset:336
	s_mov_b32 s3, 0x3febb67a
	s_wait_alu 0xfffe
	s_mov_b32 s12, s2
	global_wb scope:SCOPE_SE
	s_wait_loadcnt_dscnt 0x0
	s_barrier_signal -1
	s_barrier_wait -1
	global_inv scope:SCOPE_SE
	v_mul_f64_e32 v[76:77], v[66:67], v[42:43]
	v_mul_f64_e32 v[78:79], v[70:71], v[38:39]
	;; [unrolled: 1-line block ×8, first 2 shown]
	v_fma_f64 v[64:65], v[64:65], v[40:41], -v[76:77]
	v_fma_f64 v[68:69], v[68:69], v[36:37], -v[78:79]
	v_fma_f64 v[66:67], v[66:67], v[40:41], v[80:81]
	v_fma_f64 v[70:71], v[70:71], v[36:37], v[82:83]
	v_fma_f64 v[60:61], v[60:61], v[48:49], -v[84:85]
	v_fma_f64 v[72:73], v[72:73], v[44:45], -v[86:87]
	v_fma_f64 v[62:63], v[62:63], v[48:49], v[88:89]
	v_fma_f64 v[74:75], v[74:75], v[44:45], v[90:91]
	v_add_f64_e32 v[84:85], v[56:57], v[64:65]
	v_add_f64_e32 v[76:77], v[64:65], v[68:69]
	v_add_f64_e64 v[64:65], v[64:65], -v[68:69]
	v_add_f64_e32 v[78:79], v[66:67], v[70:71]
	v_add_f64_e64 v[86:87], v[66:67], -v[70:71]
	v_add_f64_e32 v[80:81], v[60:61], v[72:73]
	v_add_f64_e32 v[66:67], v[58:59], v[66:67]
	;; [unrolled: 1-line block ×5, first 2 shown]
	v_add_f64_e64 v[93:94], v[62:63], -v[74:75]
	v_add_f64_e64 v[105:106], v[60:61], -v[72:73]
	v_fma_f64 v[76:77], v[76:77], -0.5, v[56:57]
	v_fma_f64 v[78:79], v[78:79], -0.5, v[58:59]
	;; [unrolled: 1-line block ×3, first 2 shown]
	v_add_f64_e32 v[52:53], v[84:85], v[68:69]
	v_fma_f64 v[82:83], v[82:83], -0.5, v[54:55]
	v_add_f64_e32 v[54:55], v[66:67], v[70:71]
	v_add_f64_e32 v[68:69], v[88:89], v[72:73]
	;; [unrolled: 1-line block ×3, first 2 shown]
	v_fma_f64 v[56:57], v[86:87], s[2:3], v[76:77]
	s_wait_alu 0xfffe
	v_fma_f64 v[60:61], v[86:87], s[12:13], v[76:77]
	v_fma_f64 v[58:59], v[64:65], s[12:13], v[78:79]
	;; [unrolled: 1-line block ×7, first 2 shown]
	v_and_b32_e32 v64, 0xffff, v101
	s_delay_alu instid0(VALU_DEP_1) | instskip(NEXT) | instid1(VALU_DEP_1)
	v_mul_u32_u24_e32 v64, 0x4b, v64
	v_add_lshl_u32 v101, v64, v107, 4
	ds_store_b128 v101, v[52:55]
	ds_store_b128 v101, v[56:59] offset:400
	ds_store_b128 v101, v[60:63] offset:800
	s_and_saveexec_b32 s2, vcc_lo
	s_cbranch_execz .LBB0_5
; %bb.4:
	v_mad_u16 v52, 0x4b, v97, v98
	s_delay_alu instid0(VALU_DEP_1) | instskip(NEXT) | instid1(VALU_DEP_1)
	v_and_b32_e32 v52, 0xffff, v52
	v_lshlrev_b32_e32 v52, 4, v52
	ds_store_b128 v52, v[68:71]
	ds_store_b128 v52, v[72:75] offset:400
	ds_store_b128 v52, v[76:79] offset:800
.LBB0_5:
	s_wait_alu 0xfffe
	s_or_b32 exec_lo, exec_lo, s2
	global_wb scope:SCOPE_SE
	s_wait_dscnt 0x0
	s_barrier_signal -1
	s_barrier_wait -1
	global_inv scope:SCOPE_SE
	ds_load_b128 v[80:83], v96
	ds_load_b128 v[88:91], v96 offset:6000
	ds_load_b128 v[84:87], v96 offset:12000
	v_add_co_u32 v93, s2, s8, v96
	s_wait_alu 0xf1ff
	v_add_co_ci_u32_e64 v94, null, s9, 0, s2
	s_and_saveexec_b32 s2, vcc_lo
	s_cbranch_execz .LBB0_7
; %bb.6:
	ds_load_b128 v[68:71], v96 offset:3600
	ds_load_b128 v[72:75], v96 offset:9600
	;; [unrolled: 1-line block ×3, first 2 shown]
.LBB0_7:
	s_wait_alu 0xfffe
	s_or_b32 exec_lo, exec_lo, s2
	v_mul_u32_u24_e32 v52, 0xb4e9, v104
	s_delay_alu instid0(VALU_DEP_1) | instskip(NEXT) | instid1(VALU_DEP_1)
	v_lshrrev_b32_e32 v52, 16, v52
	v_sub_nc_u16 v53, v102, v52
	s_delay_alu instid0(VALU_DEP_1) | instskip(NEXT) | instid1(VALU_DEP_1)
	v_lshrrev_b16 v53, 1, v53
	v_add_nc_u16 v52, v53, v52
	v_mul_lo_u16 v53, 0xdb, v103
	s_delay_alu instid0(VALU_DEP_2) | instskip(NEXT) | instid1(VALU_DEP_2)
	v_lshrrev_b16 v122, 6, v52
	v_lshrrev_b16 v123, 14, v53
	s_delay_alu instid0(VALU_DEP_2) | instskip(NEXT) | instid1(VALU_DEP_2)
	v_mul_lo_u16 v52, 0x4b, v122
	v_mul_lo_u16 v53, 0x4b, v123
	s_delay_alu instid0(VALU_DEP_2) | instskip(NEXT) | instid1(VALU_DEP_2)
	v_sub_nc_u16 v124, v102, v52
	v_sub_nc_u16 v52, v95, v53
	s_delay_alu instid0(VALU_DEP_2) | instskip(NEXT) | instid1(VALU_DEP_2)
	v_lshlrev_b16 v53, 5, v124
	v_and_b32_e32 v125, 0xff, v52
	s_delay_alu instid0(VALU_DEP_2) | instskip(NEXT) | instid1(VALU_DEP_2)
	v_and_b32_e32 v52, 0xffff, v53
	v_lshlrev_b32_e32 v54, 5, v125
	s_delay_alu instid0(VALU_DEP_2)
	v_add_co_u32 v52, s2, s10, v52
	s_wait_alu 0xf1ff
	v_add_co_ci_u32_e64 v53, null, s11, 0, s2
	s_mov_b32 s2, 0xe8584caa
	s_clause 0x3
	global_load_b128 v[64:67], v54, s[10:11] offset:1120
	global_load_b128 v[60:63], v54, s[10:11] offset:1136
	global_load_b128 v[56:59], v[52:53], off offset:1120
	global_load_b128 v[52:55], v[52:53], off offset:1136
	s_mov_b32 s3, 0x3febb67a
	s_wait_alu 0xfffe
	s_mov_b32 s12, s2
	global_wb scope:SCOPE_SE
	s_wait_loadcnt_dscnt 0x0
	s_barrier_signal -1
	s_barrier_wait -1
	global_inv scope:SCOPE_SE
	v_mul_f64_e32 v[102:103], v[90:91], v[66:67]
	v_mul_f64_e32 v[104:105], v[88:89], v[66:67]
	;; [unrolled: 1-line block ×8, first 2 shown]
	v_fma_f64 v[102:103], v[88:89], v[64:65], -v[102:103]
	v_fma_f64 v[104:105], v[90:91], v[64:65], v[104:105]
	v_fma_f64 v[84:85], v[84:85], v[60:61], -v[106:107]
	v_fma_f64 v[86:87], v[86:87], v[60:61], v[108:109]
	;; [unrolled: 2-line block ×4, first 2 shown]
	v_add_f64_e32 v[112:113], v[80:81], v[102:103]
	v_add_f64_e32 v[116:117], v[82:83], v[104:105]
	;; [unrolled: 1-line block ×4, first 2 shown]
	v_add_f64_e64 v[114:115], v[104:105], -v[86:87]
	v_add_f64_e64 v[102:103], v[102:103], -v[84:85]
	v_add_f64_e32 v[108:109], v[88:89], v[72:73]
	v_add_f64_e32 v[110:111], v[90:91], v[74:75]
	v_add_f64_e64 v[78:79], v[90:91], -v[74:75]
	v_add_f64_e32 v[104:105], v[112:113], v[84:85]
	v_fma_f64 v[118:119], v[76:77], -0.5, v[80:81]
	v_fma_f64 v[120:121], v[106:107], -0.5, v[82:83]
	v_add_f64_e64 v[82:83], v[88:89], -v[72:73]
	v_add_f64_e32 v[106:107], v[116:117], v[86:87]
	v_fma_f64 v[76:77], v[108:109], -0.5, v[68:69]
	v_fma_f64 v[80:81], v[110:111], -0.5, v[70:71]
	v_fma_f64 v[108:109], v[114:115], s[2:3], v[118:119]
	s_wait_alu 0xfffe
	v_fma_f64 v[110:111], v[102:103], s[12:13], v[120:121]
	v_fma_f64 v[112:113], v[114:115], s[12:13], v[118:119]
	;; [unrolled: 1-line block ×5, first 2 shown]
	v_and_b32_e32 v102, 0xffff, v123
	s_delay_alu instid0(VALU_DEP_1) | instskip(NEXT) | instid1(VALU_DEP_1)
	v_mul_u32_u24_e32 v102, 0xe1, v102
	v_add_lshl_u32 v103, v102, v125, 4
	v_mad_u16 v102, 0xe1, v122, v124
	ds_store_b128 v103, v[104:107]
	ds_store_b128 v103, v[108:111] offset:1200
	ds_store_b128 v103, v[112:115] offset:2400
	s_and_saveexec_b32 s12, vcc_lo
	s_cbranch_execz .LBB0_9
; %bb.8:
	v_add_f64_e32 v[90:91], v[70:71], v[90:91]
	v_add_f64_e32 v[68:69], v[68:69], v[88:89]
	v_mul_f64_e32 v[82:83], s[2:3], v[82:83]
	v_mul_f64_e32 v[78:79], s[2:3], v[78:79]
	s_delay_alu instid0(VALU_DEP_4) | instskip(NEXT) | instid1(VALU_DEP_4)
	v_add_f64_e32 v[74:75], v[90:91], v[74:75]
	v_add_f64_e32 v[72:73], v[68:69], v[72:73]
	s_delay_alu instid0(VALU_DEP_4) | instskip(NEXT) | instid1(VALU_DEP_4)
	v_add_f64_e64 v[70:71], v[80:81], -v[82:83]
	v_add_f64_e32 v[68:69], v[78:79], v[76:77]
	v_and_b32_e32 v76, 0xffff, v102
	s_delay_alu instid0(VALU_DEP_1)
	v_lshlrev_b32_e32 v76, 4, v76
	ds_store_b128 v76, v[72:75]
	ds_store_b128 v76, v[68:71] offset:1200
	ds_store_b128 v76, v[84:87] offset:2400
.LBB0_9:
	s_wait_alu 0xfffe
	s_or_b32 exec_lo, exec_lo, s12
	v_lshlrev_b32_e32 v68, 6, v95
	global_wb scope:SCOPE_SE
	s_wait_dscnt 0x0
	s_barrier_signal -1
	s_barrier_wait -1
	global_inv scope:SCOPE_SE
	s_clause 0x3
	global_load_b128 v[80:83], v68, s[10:11] offset:3520
	global_load_b128 v[76:79], v68, s[10:11] offset:3536
	;; [unrolled: 1-line block ×4, first 2 shown]
	ds_load_b128 v[88:91], v96 offset:3600
	ds_load_b128 v[104:107], v96 offset:7200
	;; [unrolled: 1-line block ×4, first 2 shown]
	s_mov_b32 s2, 0x134454ff
	s_mov_b32 s3, 0x3fee6f0e
	;; [unrolled: 1-line block ×3, first 2 shown]
	s_wait_alu 0xfffe
	s_mov_b32 s10, s2
	s_mov_b32 s13, 0xbfe2cf23
	;; [unrolled: 1-line block ×5, first 2 shown]
	s_add_nc_u64 s[8:9], s[8:9], 0x4650
	s_wait_loadcnt_dscnt 0x303
	v_mul_f64_e32 v[116:117], v[90:91], v[82:83]
	s_wait_loadcnt_dscnt 0x202
	v_mul_f64_e32 v[118:119], v[106:107], v[78:79]
	;; [unrolled: 2-line block ×4, first 2 shown]
	v_mul_f64_e32 v[126:127], v[104:105], v[78:79]
	v_mul_f64_e32 v[128:129], v[108:109], v[74:75]
	;; [unrolled: 1-line block ×4, first 2 shown]
	v_fma_f64 v[116:117], v[88:89], v[80:81], -v[116:117]
	v_fma_f64 v[104:105], v[104:105], v[76:77], -v[118:119]
	;; [unrolled: 1-line block ×4, first 2 shown]
	v_fma_f64 v[106:107], v[106:107], v[76:77], v[126:127]
	v_fma_f64 v[110:111], v[110:111], v[72:73], v[128:129]
	;; [unrolled: 1-line block ×4, first 2 shown]
	ds_load_b128 v[88:91], v96
	s_wait_dscnt 0x0
	v_add_f64_e32 v[128:129], v[88:89], v[116:117]
	v_add_f64_e32 v[120:121], v[104:105], v[108:109]
	v_add_f64_e32 v[122:123], v[116:117], v[112:113]
	v_add_f64_e64 v[136:137], v[116:117], -v[112:113]
	v_add_f64_e32 v[124:125], v[106:107], v[110:111]
	v_add_f64_e32 v[134:135], v[90:91], v[118:119]
	;; [unrolled: 1-line block ×3, first 2 shown]
	v_add_f64_e64 v[130:131], v[118:119], -v[114:115]
	v_add_f64_e64 v[132:133], v[106:107], -v[110:111]
	v_add_f64_e64 v[142:143], v[118:119], -v[106:107]
	v_add_f64_e64 v[118:119], v[106:107], -v[118:119]
	v_add_f64_e64 v[138:139], v[112:113], -v[108:109]
	v_add_f64_e64 v[144:145], v[114:115], -v[110:111]
	v_add_f64_e64 v[140:141], v[108:109], -v[112:113]
	v_add_f64_e64 v[146:147], v[110:111], -v[114:115]
	v_fma_f64 v[120:121], v[120:121], -0.5, v[88:89]
	v_fma_f64 v[88:89], v[122:123], -0.5, v[88:89]
	v_add_f64_e64 v[122:123], v[104:105], -v[108:109]
	v_fma_f64 v[124:125], v[124:125], -0.5, v[90:91]
	v_add_f64_e32 v[106:107], v[134:135], v[106:107]
	v_fma_f64 v[90:91], v[126:127], -0.5, v[90:91]
	v_add_f64_e64 v[126:127], v[116:117], -v[104:105]
	v_add_f64_e64 v[116:117], v[104:105], -v[116:117]
	v_add_f64_e32 v[104:105], v[128:129], v[104:105]
	v_add_f64_e32 v[118:119], v[118:119], v[146:147]
	v_fma_f64 v[128:129], v[130:131], s[2:3], v[120:121]
	s_wait_alu 0xfffe
	v_fma_f64 v[120:121], v[130:131], s[10:11], v[120:121]
	v_fma_f64 v[134:135], v[132:133], s[10:11], v[88:89]
	;; [unrolled: 1-line block ×7, first 2 shown]
	v_add_f64_e32 v[104:105], v[104:105], v[108:109]
	v_add_f64_e32 v[106:107], v[106:107], v[110:111]
	;; [unrolled: 1-line block ×5, first 2 shown]
	v_fma_f64 v[108:109], v[132:133], s[14:15], v[128:129]
	v_fma_f64 v[110:111], v[132:133], s[12:13], v[120:121]
	;; [unrolled: 1-line block ×8, first 2 shown]
	v_add_f64_e32 v[88:89], v[104:105], v[112:113]
	v_add_f64_e32 v[90:91], v[106:107], v[114:115]
	v_fma_f64 v[104:105], v[126:127], s[16:17], v[108:109]
	v_fma_f64 v[108:109], v[126:127], s[16:17], v[110:111]
	;; [unrolled: 1-line block ×8, first 2 shown]
	ds_store_b128 v96, v[88:91]
	ds_store_b128 v96, v[104:107] offset:3600
	ds_store_b128 v96, v[112:115] offset:7200
	;; [unrolled: 1-line block ×4, first 2 shown]
	global_wb scope:SCOPE_SE
	s_wait_dscnt 0x0
	s_barrier_signal -1
	s_barrier_wait -1
	global_inv scope:SCOPE_SE
	s_clause 0x4
	global_load_b128 v[88:91], v[93:94], off offset:18000
	global_load_b128 v[104:107], v96, s[8:9] offset:3600
	global_load_b128 v[108:111], v96, s[8:9] offset:7200
	;; [unrolled: 1-line block ×4, first 2 shown]
	ds_load_b128 v[120:123], v96
	ds_load_b128 v[124:127], v96 offset:3600
	ds_load_b128 v[128:131], v96 offset:7200
	;; [unrolled: 1-line block ×4, first 2 shown]
	s_wait_loadcnt_dscnt 0x404
	v_mul_f64_e32 v[93:94], v[122:123], v[90:91]
	v_mul_f64_e32 v[90:91], v[120:121], v[90:91]
	s_wait_loadcnt_dscnt 0x303
	v_mul_f64_e32 v[140:141], v[126:127], v[106:107]
	v_mul_f64_e32 v[106:107], v[124:125], v[106:107]
	s_wait_loadcnt_dscnt 0x202
	v_mul_f64_e32 v[142:143], v[130:131], v[110:111]
	v_mul_f64_e32 v[110:111], v[128:129], v[110:111]
	s_wait_loadcnt_dscnt 0x101
	v_mul_f64_e32 v[144:145], v[134:135], v[114:115]
	v_mul_f64_e32 v[114:115], v[132:133], v[114:115]
	s_wait_loadcnt_dscnt 0x0
	v_mul_f64_e32 v[146:147], v[138:139], v[118:119]
	v_mul_f64_e32 v[148:149], v[136:137], v[118:119]
	v_fma_f64 v[118:119], v[120:121], v[88:89], -v[93:94]
	v_fma_f64 v[120:121], v[122:123], v[88:89], v[90:91]
	v_fma_f64 v[88:89], v[124:125], v[104:105], -v[140:141]
	v_fma_f64 v[90:91], v[126:127], v[104:105], v[106:107]
	;; [unrolled: 2-line block ×5, first 2 shown]
	ds_store_b128 v96, v[118:121]
	ds_store_b128 v96, v[88:91] offset:3600
	ds_store_b128 v96, v[104:107] offset:7200
	;; [unrolled: 1-line block ×4, first 2 shown]
	global_wb scope:SCOPE_SE
	s_wait_dscnt 0x0
	s_barrier_signal -1
	s_barrier_wait -1
	global_inv scope:SCOPE_SE
	ds_load_b128 v[88:91], v96 offset:7200
	ds_load_b128 v[104:107], v96 offset:10800
	ds_load_b128 v[108:111], v96 offset:3600
	ds_load_b128 v[112:115], v96 offset:14400
	ds_load_b128 v[116:119], v96
	global_wb scope:SCOPE_SE
	s_wait_dscnt 0x0
	s_barrier_signal -1
	s_barrier_wait -1
	global_inv scope:SCOPE_SE
	v_add_f64_e32 v[93:94], v[88:89], v[104:105]
	v_add_f64_e32 v[122:123], v[90:91], v[106:107]
	;; [unrolled: 1-line block ×6, first 2 shown]
	v_add_f64_e64 v[128:129], v[110:111], -v[114:115]
	v_add_f64_e64 v[130:131], v[90:91], -v[106:107]
	;; [unrolled: 1-line block ×9, first 2 shown]
	v_fma_f64 v[93:94], v[93:94], -0.5, v[116:117]
	v_fma_f64 v[122:123], v[122:123], -0.5, v[118:119]
	;; [unrolled: 1-line block ×3, first 2 shown]
	v_add_f64_e64 v[120:121], v[88:89], -v[104:105]
	v_fma_f64 v[118:119], v[124:125], -0.5, v[118:119]
	v_add_f64_e64 v[124:125], v[108:109], -v[88:89]
	v_add_f64_e64 v[108:109], v[88:89], -v[108:109]
	v_add_f64_e32 v[88:89], v[126:127], v[88:89]
	v_add_f64_e32 v[90:91], v[132:133], v[90:91]
	;; [unrolled: 1-line block ×3, first 2 shown]
	v_fma_f64 v[126:127], v[128:129], s[10:11], v[93:94]
	v_fma_f64 v[146:147], v[134:135], s[2:3], v[122:123]
	;; [unrolled: 1-line block ×8, first 2 shown]
	v_add_f64_e32 v[88:89], v[88:89], v[104:105]
	v_add_f64_e32 v[90:91], v[90:91], v[106:107]
	;; [unrolled: 1-line block ×5, first 2 shown]
	v_fma_f64 v[104:105], v[130:131], s[12:13], v[126:127]
	v_fma_f64 v[126:127], v[120:121], s[14:15], v[146:147]
	;; [unrolled: 1-line block ×8, first 2 shown]
	v_add_f64_e32 v[88:89], v[88:89], v[112:113]
	v_add_f64_e32 v[90:91], v[90:91], v[114:115]
	v_fma_f64 v[104:105], v[124:125], s[16:17], v[104:105]
	v_fma_f64 v[112:113], v[136:137], s[16:17], v[106:107]
	v_fma_f64 v[106:107], v[138:139], s[16:17], v[126:127]
	v_fma_f64 v[114:115], v[110:111], s[16:17], v[128:129]
	v_fma_f64 v[116:117], v[136:137], s[16:17], v[116:117]
	v_fma_f64 v[118:119], v[110:111], s[16:17], v[118:119]
	v_fma_f64 v[108:109], v[124:125], s[16:17], v[93:94]
	v_fma_f64 v[110:111], v[138:139], s[16:17], v[120:121]
	ds_store_b128 v99, v[88:91]
	ds_store_b128 v99, v[104:107] offset:16
	ds_store_b128 v99, v[112:115] offset:32
	;; [unrolled: 1-line block ×4, first 2 shown]
	global_wb scope:SCOPE_SE
	s_wait_dscnt 0x0
	s_barrier_signal -1
	s_barrier_wait -1
	global_inv scope:SCOPE_SE
	ds_load_b128 v[88:91], v96 offset:3600
	ds_load_b128 v[104:107], v96 offset:7200
	;; [unrolled: 1-line block ×4, first 2 shown]
	s_wait_dscnt 0x3
	v_mul_f64_e32 v[93:94], v[34:35], v[90:91]
	s_wait_dscnt 0x2
	v_mul_f64_e32 v[116:117], v[30:31], v[106:107]
	;; [unrolled: 2-line block ×3, first 2 shown]
	v_mul_f64_e32 v[30:31], v[30:31], v[104:105]
	v_mul_f64_e32 v[26:27], v[26:27], v[108:109]
	;; [unrolled: 1-line block ×3, first 2 shown]
	s_wait_dscnt 0x0
	v_mul_f64_e32 v[120:121], v[22:23], v[114:115]
	v_mul_f64_e32 v[22:23], v[22:23], v[112:113]
	v_fma_f64 v[88:89], v[32:33], v[88:89], v[93:94]
	v_fma_f64 v[93:94], v[28:29], v[104:105], v[116:117]
	;; [unrolled: 1-line block ×3, first 2 shown]
	v_fma_f64 v[28:29], v[28:29], v[106:107], -v[30:31]
	v_fma_f64 v[24:25], v[24:25], v[110:111], -v[26:27]
	;; [unrolled: 1-line block ×3, first 2 shown]
	v_fma_f64 v[34:35], v[20:21], v[112:113], v[120:121]
	v_fma_f64 v[26:27], v[20:21], v[114:115], -v[22:23]
	ds_load_b128 v[20:23], v96
	global_wb scope:SCOPE_SE
	s_wait_dscnt 0x0
	s_barrier_signal -1
	s_barrier_wait -1
	global_inv scope:SCOPE_SE
	v_add_f64_e32 v[110:111], v[20:21], v[88:89]
	v_add_f64_e32 v[30:31], v[93:94], v[104:105]
	;; [unrolled: 1-line block ×6, first 2 shown]
	v_add_f64_e64 v[112:113], v[32:33], -v[26:27]
	v_add_f64_e64 v[118:119], v[88:89], -v[34:35]
	;; [unrolled: 1-line block ×9, first 2 shown]
	v_fma_f64 v[30:31], v[30:31], -0.5, v[20:21]
	v_fma_f64 v[106:107], v[106:107], -0.5, v[22:23]
	v_add_f64_e32 v[28:29], v[116:117], v[28:29]
	v_fma_f64 v[20:21], v[90:91], -0.5, v[20:21]
	v_add_f64_e64 v[90:91], v[93:94], -v[104:105]
	v_fma_f64 v[22:23], v[108:109], -0.5, v[22:23]
	v_add_f64_e64 v[108:109], v[88:89], -v[93:94]
	v_add_f64_e64 v[88:89], v[93:94], -v[88:89]
	v_add_f64_e32 v[93:94], v[110:111], v[93:94]
	v_fma_f64 v[110:111], v[112:113], s[10:11], v[30:31]
	v_fma_f64 v[30:31], v[112:113], s[2:3], v[30:31]
	;; [unrolled: 1-line block ×8, first 2 shown]
	v_add_f64_e32 v[108:109], v[108:109], v[120:121]
	v_add_f64_e32 v[120:121], v[88:89], v[122:123]
	;; [unrolled: 1-line block ×6, first 2 shown]
	v_fma_f64 v[88:89], v[114:115], s[12:13], v[110:111]
	v_fma_f64 v[30:31], v[114:115], s[14:15], v[30:31]
	v_fma_f64 v[104:105], v[90:91], s[14:15], v[130:131]
	v_fma_f64 v[106:107], v[90:91], s[12:13], v[106:107]
	v_fma_f64 v[93:94], v[112:113], s[12:13], v[116:117]
	v_fma_f64 v[20:21], v[112:113], s[14:15], v[20:21]
	v_fma_f64 v[110:111], v[118:119], s[14:15], v[132:133]
	v_fma_f64 v[22:23], v[118:119], s[12:13], v[22:23]
	v_add_f64_e32 v[24:25], v[32:33], v[34:35]
	v_add_f64_e32 v[26:27], v[28:29], v[26:27]
	v_fma_f64 v[32:33], v[108:109], s[16:17], v[88:89]
	v_fma_f64 v[28:29], v[108:109], s[16:17], v[30:31]
	;; [unrolled: 1-line block ×8, first 2 shown]
	ds_store_b128 v100, v[24:27]
	ds_store_b128 v100, v[32:35] offset:80
	ds_store_b128 v100, v[88:91] offset:160
	;; [unrolled: 1-line block ×4, first 2 shown]
	global_wb scope:SCOPE_SE
	s_wait_dscnt 0x0
	s_barrier_signal -1
	s_barrier_wait -1
	global_inv scope:SCOPE_SE
	ds_load_b128 v[24:27], v96
	ds_load_b128 v[32:35], v96 offset:6000
	ds_load_b128 v[88:91], v96 offset:12000
	s_and_saveexec_b32 s2, vcc_lo
	s_cbranch_execz .LBB0_11
; %bb.10:
	ds_load_b128 v[20:23], v96 offset:3600
	ds_load_b128 v[28:31], v96 offset:9600
	;; [unrolled: 1-line block ×3, first 2 shown]
.LBB0_11:
	s_wait_alu 0xfffe
	s_or_b32 exec_lo, exec_lo, s2
	s_wait_dscnt 0x1
	v_mul_f64_e32 v[93:94], v[42:43], v[34:35]
	s_wait_dscnt 0x0
	v_mul_f64_e32 v[99:100], v[38:39], v[90:91]
	v_mul_f64_e32 v[42:43], v[42:43], v[32:33]
	;; [unrolled: 1-line block ×7, first 2 shown]
	s_mov_b32 s2, 0xe8584caa
	s_mov_b32 s3, 0xbfebb67a
	;; [unrolled: 1-line block ×3, first 2 shown]
	s_wait_alu 0xfffe
	s_mov_b32 s8, s2
	global_wb scope:SCOPE_SE
	s_barrier_signal -1
	s_barrier_wait -1
	global_inv scope:SCOPE_SE
	v_fma_f64 v[32:33], v[40:41], v[32:33], v[93:94]
	v_fma_f64 v[88:89], v[36:37], v[88:89], v[99:100]
	v_fma_f64 v[34:35], v[40:41], v[34:35], -v[42:43]
	v_fma_f64 v[36:37], v[36:37], v[90:91], -v[38:39]
	v_fma_f64 v[28:29], v[48:49], v[28:29], v[104:105]
	v_fma_f64 v[38:39], v[44:45], v[84:85], v[106:107]
	v_fma_f64 v[30:31], v[48:49], v[30:31], -v[50:51]
	v_fma_f64 v[40:41], v[44:45], v[86:87], -v[46:47]
	v_add_f64_e32 v[50:51], v[24:25], v[32:33]
	v_add_f64_e32 v[42:43], v[32:33], v[88:89]
	;; [unrolled: 1-line block ×3, first 2 shown]
	v_add_f64_e64 v[84:85], v[34:35], -v[36:37]
	v_add_f64_e32 v[46:47], v[28:29], v[38:39]
	v_add_f64_e32 v[34:35], v[26:27], v[34:35]
	;; [unrolled: 1-line block ×5, first 2 shown]
	v_add_f64_e64 v[30:31], v[30:31], -v[40:41]
	v_fma_f64 v[24:25], v[42:43], -0.5, v[24:25]
	v_add_f64_e64 v[42:43], v[32:33], -v[88:89]
	v_fma_f64 v[26:27], v[44:45], -0.5, v[26:27]
	v_add_f64_e32 v[32:33], v[50:51], v[88:89]
	v_fma_f64 v[44:45], v[46:47], -0.5, v[20:21]
	v_add_f64_e64 v[46:47], v[28:29], -v[38:39]
	v_fma_f64 v[48:49], v[48:49], -0.5, v[22:23]
	v_add_f64_e32 v[34:35], v[34:35], v[36:37]
	v_add_f64_e32 v[20:21], v[86:87], v[38:39]
	;; [unrolled: 1-line block ×3, first 2 shown]
	v_fma_f64 v[36:37], v[84:85], s[2:3], v[24:25]
	s_wait_alu 0xfffe
	v_fma_f64 v[40:41], v[84:85], s[8:9], v[24:25]
	v_fma_f64 v[38:39], v[42:43], s[8:9], v[26:27]
	;; [unrolled: 1-line block ×7, first 2 shown]
	ds_store_b128 v101, v[32:35]
	ds_store_b128 v101, v[36:39] offset:400
	ds_store_b128 v101, v[40:43] offset:800
	s_and_saveexec_b32 s2, vcc_lo
	s_cbranch_execz .LBB0_13
; %bb.12:
	v_mad_u16 v32, 0x4b, v97, v98
	s_delay_alu instid0(VALU_DEP_1) | instskip(NEXT) | instid1(VALU_DEP_1)
	v_and_b32_e32 v32, 0xffff, v32
	v_lshlrev_b32_e32 v32, 4, v32
	ds_store_b128 v32, v[20:23]
	ds_store_b128 v32, v[24:27] offset:400
	ds_store_b128 v32, v[28:31] offset:800
.LBB0_13:
	s_wait_alu 0xfffe
	s_or_b32 exec_lo, exec_lo, s2
	global_wb scope:SCOPE_SE
	s_wait_dscnt 0x0
	s_barrier_signal -1
	s_barrier_wait -1
	global_inv scope:SCOPE_SE
	ds_load_b128 v[32:35], v96
	ds_load_b128 v[36:39], v96 offset:6000
	ds_load_b128 v[40:43], v96 offset:12000
	s_and_saveexec_b32 s2, vcc_lo
	s_cbranch_execz .LBB0_15
; %bb.14:
	ds_load_b128 v[20:23], v96 offset:3600
	ds_load_b128 v[24:27], v96 offset:9600
	;; [unrolled: 1-line block ×3, first 2 shown]
.LBB0_15:
	s_wait_alu 0xfffe
	s_or_b32 exec_lo, exec_lo, s2
	s_wait_dscnt 0x1
	v_mul_f64_e32 v[44:45], v[66:67], v[38:39]
	s_wait_dscnt 0x0
	v_mul_f64_e32 v[46:47], v[62:63], v[42:43]
	v_mul_f64_e32 v[48:49], v[66:67], v[36:37]
	;; [unrolled: 1-line block ×3, first 2 shown]
	s_mov_b32 s2, 0xe8584caa
	s_mov_b32 s3, 0xbfebb67a
	s_wait_alu 0xfffe
	s_mov_b32 s8, s2
	global_wb scope:SCOPE_SE
	s_barrier_signal -1
	s_barrier_wait -1
	global_inv scope:SCOPE_SE
	v_fma_f64 v[36:37], v[64:65], v[36:37], v[44:45]
	v_fma_f64 v[40:41], v[60:61], v[40:41], v[46:47]
	v_fma_f64 v[38:39], v[64:65], v[38:39], -v[48:49]
	v_fma_f64 v[42:43], v[60:61], v[42:43], -v[50:51]
	s_delay_alu instid0(VALU_DEP_4) | instskip(NEXT) | instid1(VALU_DEP_4)
	v_add_f64_e32 v[48:49], v[32:33], v[36:37]
	v_add_f64_e32 v[44:45], v[36:37], v[40:41]
	v_add_f64_e64 v[60:61], v[36:37], -v[40:41]
	s_delay_alu instid0(VALU_DEP_4)
	v_add_f64_e32 v[46:47], v[38:39], v[42:43]
	v_add_f64_e64 v[50:51], v[38:39], -v[42:43]
	v_add_f64_e32 v[38:39], v[34:35], v[38:39]
	v_fma_f64 v[44:45], v[44:45], -0.5, v[32:33]
	v_add_f64_e32 v[32:33], v[48:49], v[40:41]
	v_fma_f64 v[46:47], v[46:47], -0.5, v[34:35]
	s_delay_alu instid0(VALU_DEP_4) | instskip(NEXT) | instid1(VALU_DEP_4)
	v_add_f64_e32 v[34:35], v[38:39], v[42:43]
	v_fma_f64 v[36:37], v[50:51], s[2:3], v[44:45]
	s_wait_alu 0xfffe
	v_fma_f64 v[40:41], v[50:51], s[8:9], v[44:45]
	s_delay_alu instid0(VALU_DEP_4)
	v_fma_f64 v[38:39], v[60:61], s[8:9], v[46:47]
	v_fma_f64 v[42:43], v[60:61], s[2:3], v[46:47]
	ds_store_b128 v103, v[32:35]
	ds_store_b128 v103, v[36:39] offset:1200
	ds_store_b128 v103, v[40:43] offset:2400
	s_and_saveexec_b32 s10, vcc_lo
	s_cbranch_execz .LBB0_17
; %bb.16:
	v_mul_f64_e32 v[32:33], v[58:59], v[24:25]
	v_mul_f64_e32 v[34:35], v[54:55], v[28:29]
	;; [unrolled: 1-line block ×4, first 2 shown]
	s_delay_alu instid0(VALU_DEP_4) | instskip(NEXT) | instid1(VALU_DEP_4)
	v_fma_f64 v[26:27], v[56:57], v[26:27], -v[32:33]
	v_fma_f64 v[30:31], v[52:53], v[30:31], -v[34:35]
	s_delay_alu instid0(VALU_DEP_4) | instskip(NEXT) | instid1(VALU_DEP_4)
	v_fma_f64 v[24:25], v[56:57], v[24:25], v[36:37]
	v_fma_f64 v[28:29], v[52:53], v[28:29], v[38:39]
	s_delay_alu instid0(VALU_DEP_4) | instskip(NEXT) | instid1(VALU_DEP_4)
	v_add_f64_e32 v[38:39], v[22:23], v[26:27]
	v_add_f64_e32 v[32:33], v[26:27], v[30:31]
	v_add_f64_e64 v[40:41], v[26:27], -v[30:31]
	s_delay_alu instid0(VALU_DEP_4)
	v_add_f64_e32 v[34:35], v[24:25], v[28:29]
	v_add_f64_e64 v[36:37], v[24:25], -v[28:29]
	v_add_f64_e32 v[24:25], v[20:21], v[24:25]
	v_fma_f64 v[32:33], v[32:33], -0.5, v[22:23]
	v_add_f64_e32 v[22:23], v[38:39], v[30:31]
	v_fma_f64 v[34:35], v[34:35], -0.5, v[20:21]
	s_delay_alu instid0(VALU_DEP_4) | instskip(NEXT) | instid1(VALU_DEP_4)
	v_add_f64_e32 v[20:21], v[24:25], v[28:29]
	v_fma_f64 v[30:31], v[36:37], s[8:9], v[32:33]
	v_fma_f64 v[26:27], v[36:37], s[2:3], v[32:33]
	s_delay_alu instid0(VALU_DEP_4) | instskip(SKIP_2) | instid1(VALU_DEP_1)
	v_fma_f64 v[28:29], v[40:41], s[2:3], v[34:35]
	v_fma_f64 v[24:25], v[40:41], s[8:9], v[34:35]
	v_and_b32_e32 v32, 0xffff, v102
	v_lshlrev_b32_e32 v32, 4, v32
	ds_store_b128 v32, v[20:23]
	ds_store_b128 v32, v[28:31] offset:1200
	ds_store_b128 v32, v[24:27] offset:2400
.LBB0_17:
	s_wait_alu 0xfffe
	s_or_b32 exec_lo, exec_lo, s10
	global_wb scope:SCOPE_SE
	s_wait_dscnt 0x0
	s_barrier_signal -1
	s_barrier_wait -1
	global_inv scope:SCOPE_SE
	ds_load_b128 v[20:23], v96 offset:3600
	ds_load_b128 v[24:27], v96 offset:7200
	;; [unrolled: 1-line block ×4, first 2 shown]
	s_mov_b32 s2, 0x134454ff
	s_mov_b32 s3, 0xbfee6f0e
	;; [unrolled: 1-line block ×3, first 2 shown]
	s_wait_alu 0xfffe
	s_mov_b32 s8, s2
	s_wait_dscnt 0x3
	v_mul_f64_e32 v[36:37], v[82:83], v[22:23]
	s_wait_dscnt 0x2
	v_mul_f64_e32 v[38:39], v[78:79], v[26:27]
	s_wait_dscnt 0x1
	v_mul_f64_e32 v[40:41], v[74:75], v[30:31]
	s_wait_dscnt 0x0
	v_mul_f64_e32 v[44:45], v[70:71], v[34:35]
	v_mul_f64_e32 v[46:47], v[78:79], v[24:25]
	v_mul_f64_e32 v[48:49], v[74:75], v[28:29]
	;; [unrolled: 1-line block ×4, first 2 shown]
	v_fma_f64 v[36:37], v[80:81], v[20:21], v[36:37]
	v_fma_f64 v[24:25], v[76:77], v[24:25], v[38:39]
	;; [unrolled: 1-line block ×4, first 2 shown]
	v_fma_f64 v[26:27], v[76:77], v[26:27], -v[46:47]
	v_fma_f64 v[30:31], v[72:73], v[30:31], -v[48:49]
	;; [unrolled: 1-line block ×4, first 2 shown]
	ds_load_b128 v[20:23], v96
	s_wait_dscnt 0x0
	v_add_f64_e32 v[48:49], v[20:21], v[36:37]
	v_add_f64_e32 v[40:41], v[24:25], v[28:29]
	;; [unrolled: 1-line block ×3, first 2 shown]
	v_add_f64_e64 v[56:57], v[36:37], -v[32:33]
	v_add_f64_e32 v[44:45], v[26:27], v[30:31]
	v_add_f64_e32 v[54:55], v[22:23], v[38:39]
	;; [unrolled: 1-line block ×3, first 2 shown]
	v_add_f64_e64 v[50:51], v[38:39], -v[34:35]
	v_add_f64_e64 v[52:53], v[26:27], -v[30:31]
	;; [unrolled: 1-line block ×8, first 2 shown]
	v_fma_f64 v[40:41], v[40:41], -0.5, v[20:21]
	v_fma_f64 v[20:21], v[42:43], -0.5, v[20:21]
	v_add_f64_e64 v[42:43], v[24:25], -v[28:29]
	v_fma_f64 v[44:45], v[44:45], -0.5, v[22:23]
	v_add_f64_e32 v[26:27], v[54:55], v[26:27]
	v_fma_f64 v[22:23], v[46:47], -0.5, v[22:23]
	v_add_f64_e64 v[46:47], v[36:37], -v[24:25]
	v_add_f64_e64 v[36:37], v[24:25], -v[36:37]
	v_add_f64_e32 v[24:25], v[48:49], v[24:25]
	v_add_f64_e32 v[38:39], v[38:39], v[66:67]
	v_fma_f64 v[48:49], v[50:51], s[2:3], v[40:41]
	s_wait_alu 0xfffe
	v_fma_f64 v[40:41], v[50:51], s[8:9], v[40:41]
	v_fma_f64 v[54:55], v[52:53], s[8:9], v[20:21]
	;; [unrolled: 1-line block ×7, first 2 shown]
	s_mov_b32 s2, 0x4755a5e
	s_mov_b32 s3, 0xbfe2cf23
	s_mov_b32 s9, 0x3fe2cf23
	s_wait_alu 0xfffe
	s_mov_b32 s8, s2
	v_add_f64_e32 v[24:25], v[24:25], v[28:29]
	v_add_f64_e32 v[26:27], v[26:27], v[30:31]
	;; [unrolled: 1-line block ×5, first 2 shown]
	v_fma_f64 v[28:29], v[52:53], s[2:3], v[48:49]
	s_wait_alu 0xfffe
	v_fma_f64 v[30:31], v[52:53], s[8:9], v[40:41]
	v_fma_f64 v[40:41], v[50:51], s[2:3], v[54:55]
	;; [unrolled: 1-line block ×7, first 2 shown]
	s_mov_b32 s2, 0x372fe950
	s_mov_b32 s3, 0x3fd3c6ef
	v_add_f64_e32 v[20:21], v[24:25], v[32:33]
	v_add_f64_e32 v[22:23], v[26:27], v[34:35]
	s_wait_alu 0xfffe
	v_fma_f64 v[24:25], v[46:47], s[2:3], v[28:29]
	v_fma_f64 v[28:29], v[46:47], s[2:3], v[30:31]
	;; [unrolled: 1-line block ×8, first 2 shown]
	s_mov_b32 s2, 0x5a912e32
	s_mov_b32 s3, 0x3f4d208a
	ds_store_b128 v96, v[20:23]
	ds_store_b128 v96, v[24:27] offset:3600
	ds_store_b128 v96, v[32:35] offset:7200
	;; [unrolled: 1-line block ×4, first 2 shown]
	global_wb scope:SCOPE_SE
	s_wait_dscnt 0x0
	s_barrier_signal -1
	s_barrier_wait -1
	global_inv scope:SCOPE_SE
	ds_load_b128 v[20:23], v96
	ds_load_b128 v[24:27], v96 offset:3600
	ds_load_b128 v[28:31], v96 offset:7200
	;; [unrolled: 1-line block ×4, first 2 shown]
	s_wait_dscnt 0x4
	v_mul_f64_e32 v[40:41], v[2:3], v[22:23]
	v_mul_f64_e32 v[2:3], v[2:3], v[20:21]
	s_wait_dscnt 0x3
	v_mul_f64_e32 v[42:43], v[6:7], v[26:27]
	v_mul_f64_e32 v[6:7], v[6:7], v[24:25]
	;; [unrolled: 3-line block ×5, first 2 shown]
	v_fma_f64 v[20:21], v[0:1], v[20:21], v[40:41]
	v_fma_f64 v[2:3], v[0:1], v[22:23], -v[2:3]
	v_fma_f64 v[22:23], v[4:5], v[24:25], v[42:43]
	v_fma_f64 v[6:7], v[4:5], v[26:27], -v[6:7]
	v_fma_f64 v[24:25], v[12:13], v[28:29], v[44:45]
	v_fma_f64 v[12:13], v[12:13], v[30:31], -v[14:15]
	v_fma_f64 v[14:15], v[8:9], v[32:33], v[46:47]
	v_fma_f64 v[26:27], v[8:9], v[34:35], -v[10:11]
	v_fma_f64 v[28:29], v[16:17], v[36:37], v[48:49]
	v_fma_f64 v[18:19], v[16:17], v[38:39], -v[18:19]
	v_mad_co_u64_u32 v[30:31], null, s6, v92, 0
	v_mad_co_u64_u32 v[32:33], null, s4, v95, 0
	s_delay_alu instid0(VALU_DEP_1) | instskip(NEXT) | instid1(VALU_DEP_1)
	v_dual_mov_b32 v0, v31 :: v_dual_mov_b32 v1, v33
	v_mad_co_u64_u32 v[4:5], null, s7, v92, v[0:1]
	s_delay_alu instid0(VALU_DEP_1)
	v_mov_b32_e32 v31, v4
	v_mad_co_u64_u32 v[0:1], null, s5, v95, v[1:2]
	s_wait_alu 0xfffe
	v_mul_f64_e32 v[2:3], s[2:3], v[2:3]
	v_mul_f64_e32 v[4:5], s[2:3], v[22:23]
	;; [unrolled: 1-line block ×6, first 2 shown]
	v_mov_b32_e32 v33, v0
	v_mul_f64_e32 v[0:1], s[2:3], v[20:21]
	v_mul_f64_e32 v[14:15], s[2:3], v[26:27]
	;; [unrolled: 1-line block ×4, first 2 shown]
	v_lshlrev_b64_e32 v[20:21], 4, v[30:31]
	v_lshlrev_b64_e32 v[22:23], 4, v[32:33]
	s_delay_alu instid0(VALU_DEP_2) | instskip(SKIP_1) | instid1(VALU_DEP_3)
	v_add_co_u32 v20, vcc_lo, s0, v20
	s_wait_alu 0xfffd
	v_add_co_ci_u32_e32 v21, vcc_lo, s1, v21, vcc_lo
	s_mul_u64 s[0:1], s[4:5], 0xe10
	s_delay_alu instid0(VALU_DEP_2) | instskip(SKIP_1) | instid1(VALU_DEP_2)
	v_add_co_u32 v20, vcc_lo, v20, v22
	s_wait_alu 0xfffd
	v_add_co_ci_u32_e32 v21, vcc_lo, v21, v23, vcc_lo
	s_wait_alu 0xfffe
	s_delay_alu instid0(VALU_DEP_2) | instskip(SKIP_1) | instid1(VALU_DEP_2)
	v_add_co_u32 v22, vcc_lo, v20, s0
	s_wait_alu 0xfffd
	v_add_co_ci_u32_e32 v23, vcc_lo, s1, v21, vcc_lo
	s_delay_alu instid0(VALU_DEP_2) | instskip(SKIP_1) | instid1(VALU_DEP_2)
	v_add_co_u32 v24, vcc_lo, v22, s0
	s_wait_alu 0xfffd
	v_add_co_ci_u32_e32 v25, vcc_lo, s1, v23, vcc_lo
	;; [unrolled: 4-line block ×4, first 2 shown]
	s_clause 0x4
	global_store_b128 v[20:21], v[0:3], off
	global_store_b128 v[22:23], v[4:7], off
	;; [unrolled: 1-line block ×5, first 2 shown]
.LBB0_18:
	s_nop 0
	s_sendmsg sendmsg(MSG_DEALLOC_VGPRS)
	s_endpgm
	.section	.rodata,"a",@progbits
	.p2align	6, 0x0
	.amdhsa_kernel bluestein_single_fwd_len1125_dim1_dp_op_CI_CI
		.amdhsa_group_segment_fixed_size 18000
		.amdhsa_private_segment_fixed_size 0
		.amdhsa_kernarg_size 104
		.amdhsa_user_sgpr_count 2
		.amdhsa_user_sgpr_dispatch_ptr 0
		.amdhsa_user_sgpr_queue_ptr 0
		.amdhsa_user_sgpr_kernarg_segment_ptr 1
		.amdhsa_user_sgpr_dispatch_id 0
		.amdhsa_user_sgpr_private_segment_size 0
		.amdhsa_wavefront_size32 1
		.amdhsa_uses_dynamic_stack 0
		.amdhsa_enable_private_segment 0
		.amdhsa_system_sgpr_workgroup_id_x 1
		.amdhsa_system_sgpr_workgroup_id_y 0
		.amdhsa_system_sgpr_workgroup_id_z 0
		.amdhsa_system_sgpr_workgroup_info 0
		.amdhsa_system_vgpr_workitem_id 0
		.amdhsa_next_free_vgpr 152
		.amdhsa_next_free_sgpr 20
		.amdhsa_reserve_vcc 1
		.amdhsa_float_round_mode_32 0
		.amdhsa_float_round_mode_16_64 0
		.amdhsa_float_denorm_mode_32 3
		.amdhsa_float_denorm_mode_16_64 3
		.amdhsa_fp16_overflow 0
		.amdhsa_workgroup_processor_mode 1
		.amdhsa_memory_ordered 1
		.amdhsa_forward_progress 0
		.amdhsa_round_robin_scheduling 0
		.amdhsa_exception_fp_ieee_invalid_op 0
		.amdhsa_exception_fp_denorm_src 0
		.amdhsa_exception_fp_ieee_div_zero 0
		.amdhsa_exception_fp_ieee_overflow 0
		.amdhsa_exception_fp_ieee_underflow 0
		.amdhsa_exception_fp_ieee_inexact 0
		.amdhsa_exception_int_div_zero 0
	.end_amdhsa_kernel
	.text
.Lfunc_end0:
	.size	bluestein_single_fwd_len1125_dim1_dp_op_CI_CI, .Lfunc_end0-bluestein_single_fwd_len1125_dim1_dp_op_CI_CI
                                        ; -- End function
	.section	.AMDGPU.csdata,"",@progbits
; Kernel info:
; codeLenInByte = 8300
; NumSgprs: 22
; NumVgprs: 152
; ScratchSize: 0
; MemoryBound: 0
; FloatMode: 240
; IeeeMode: 1
; LDSByteSize: 18000 bytes/workgroup (compile time only)
; SGPRBlocks: 2
; VGPRBlocks: 18
; NumSGPRsForWavesPerEU: 22
; NumVGPRsForWavesPerEU: 152
; Occupancy: 9
; WaveLimiterHint : 1
; COMPUTE_PGM_RSRC2:SCRATCH_EN: 0
; COMPUTE_PGM_RSRC2:USER_SGPR: 2
; COMPUTE_PGM_RSRC2:TRAP_HANDLER: 0
; COMPUTE_PGM_RSRC2:TGID_X_EN: 1
; COMPUTE_PGM_RSRC2:TGID_Y_EN: 0
; COMPUTE_PGM_RSRC2:TGID_Z_EN: 0
; COMPUTE_PGM_RSRC2:TIDIG_COMP_CNT: 0
	.text
	.p2alignl 7, 3214868480
	.fill 96, 4, 3214868480
	.type	__hip_cuid_f555a3fb533361a3,@object ; @__hip_cuid_f555a3fb533361a3
	.section	.bss,"aw",@nobits
	.globl	__hip_cuid_f555a3fb533361a3
__hip_cuid_f555a3fb533361a3:
	.byte	0                               ; 0x0
	.size	__hip_cuid_f555a3fb533361a3, 1

	.ident	"AMD clang version 19.0.0git (https://github.com/RadeonOpenCompute/llvm-project roc-6.4.0 25133 c7fe45cf4b819c5991fe208aaa96edf142730f1d)"
	.section	".note.GNU-stack","",@progbits
	.addrsig
	.addrsig_sym __hip_cuid_f555a3fb533361a3
	.amdgpu_metadata
---
amdhsa.kernels:
  - .args:
      - .actual_access:  read_only
        .address_space:  global
        .offset:         0
        .size:           8
        .value_kind:     global_buffer
      - .actual_access:  read_only
        .address_space:  global
        .offset:         8
        .size:           8
        .value_kind:     global_buffer
      - .actual_access:  read_only
        .address_space:  global
        .offset:         16
        .size:           8
        .value_kind:     global_buffer
      - .actual_access:  read_only
        .address_space:  global
        .offset:         24
        .size:           8
        .value_kind:     global_buffer
      - .actual_access:  read_only
        .address_space:  global
        .offset:         32
        .size:           8
        .value_kind:     global_buffer
      - .offset:         40
        .size:           8
        .value_kind:     by_value
      - .address_space:  global
        .offset:         48
        .size:           8
        .value_kind:     global_buffer
      - .address_space:  global
        .offset:         56
        .size:           8
        .value_kind:     global_buffer
      - .address_space:  global
        .offset:         64
        .size:           8
        .value_kind:     global_buffer
      - .address_space:  global
        .offset:         72
        .size:           8
        .value_kind:     global_buffer
      - .offset:         80
        .size:           4
        .value_kind:     by_value
      - .address_space:  global
        .offset:         88
        .size:           8
        .value_kind:     global_buffer
      - .address_space:  global
        .offset:         96
        .size:           8
        .value_kind:     global_buffer
    .group_segment_fixed_size: 18000
    .kernarg_segment_align: 8
    .kernarg_segment_size: 104
    .language:       OpenCL C
    .language_version:
      - 2
      - 0
    .max_flat_workgroup_size: 225
    .name:           bluestein_single_fwd_len1125_dim1_dp_op_CI_CI
    .private_segment_fixed_size: 0
    .sgpr_count:     22
    .sgpr_spill_count: 0
    .symbol:         bluestein_single_fwd_len1125_dim1_dp_op_CI_CI.kd
    .uniform_work_group_size: 1
    .uses_dynamic_stack: false
    .vgpr_count:     152
    .vgpr_spill_count: 0
    .wavefront_size: 32
    .workgroup_processor_mode: 1
amdhsa.target:   amdgcn-amd-amdhsa--gfx1201
amdhsa.version:
  - 1
  - 2
...

	.end_amdgpu_metadata
